;; amdgpu-corpus repo=ROCm/rocFFT kind=compiled arch=gfx950 opt=O3
	.text
	.amdgcn_target "amdgcn-amd-amdhsa--gfx950"
	.amdhsa_code_object_version 6
	.protected	fft_rtc_fwd_len121_factors_11_11_wgs_121_tpt_11_dp_op_CI_CI_sbrc_xy_z_unaligned_dirReg ; -- Begin function fft_rtc_fwd_len121_factors_11_11_wgs_121_tpt_11_dp_op_CI_CI_sbrc_xy_z_unaligned_dirReg
	.globl	fft_rtc_fwd_len121_factors_11_11_wgs_121_tpt_11_dp_op_CI_CI_sbrc_xy_z_unaligned_dirReg
	.p2align	8
	.type	fft_rtc_fwd_len121_factors_11_11_wgs_121_tpt_11_dp_op_CI_CI_sbrc_xy_z_unaligned_dirReg,@function
fft_rtc_fwd_len121_factors_11_11_wgs_121_tpt_11_dp_op_CI_CI_sbrc_xy_z_unaligned_dirReg: ; @fft_rtc_fwd_len121_factors_11_11_wgs_121_tpt_11_dp_op_CI_CI_sbrc_xy_z_unaligned_dirReg
; %bb.0:
	s_load_dwordx4 s[4:7], s[0:1], 0x10
	s_load_dwordx2 s[18:19], s[0:1], 0x20
	s_waitcnt lgkmcnt(0)
	s_load_dwordx4 s[8:11], s[4:5], 0x8
	s_mov_b64 s[4:5], 0
	s_load_dwordx4 s[12:15], s[6:7], 0x0
	s_load_dwordx2 s[16:17], s[6:7], 0x10
	s_waitcnt lgkmcnt(0)
	s_add_i32 s3, s10, -1
	s_mul_hi_u32 s3, s3, 0xba2e8ba3
	s_lshr_b32 s3, s3, 3
	s_add_i32 s3, s3, 1
	s_mul_i32 s11, s3, s8
	v_cvt_f32_u32_e32 v1, s11
	s_sub_i32 s5, 0, s11
	s_mov_b32 s3, 0
	s_mov_b32 s21, s3
	v_rcp_iflag_f32_e32 v1, v1
	v_mov_b64_e32 v[2:3], s[8:9]
	v_mul_f32_e32 v1, 0x4f7ffffe, v1
	v_cvt_u32_f32_e32 v1, v1
	s_nop 0
	v_readfirstlane_b32 s15, v1
	s_mul_i32 s5, s5, s15
	s_mul_hi_u32 s5, s15, s5
	s_add_i32 s15, s15, s5
	s_mul_hi_u32 s5, s2, s15
	s_mul_i32 s15, s5, s11
	s_sub_i32 s15, s2, s15
	s_add_i32 s17, s5, 1
	s_sub_i32 s20, s15, s11
	s_cmp_ge_u32 s15, s11
	s_cselect_b32 s5, s17, s5
	s_cselect_b32 s15, s20, s15
	s_add_i32 s17, s5, 1
	s_cmp_ge_u32 s15, s11
	s_cselect_b32 s33, s17, s5
	s_mul_i32 s5, s33, s11
	v_cvt_f32_u32_e32 v1, s8
	s_sub_i32 s20, s2, s5
	v_cmp_lt_u64_e32 vcc, s[20:21], v[2:3]
	s_cbranch_vccnz .LBB0_2
; %bb.1:
	v_rcp_iflag_f32_e32 v2, v1
	s_sub_i32 s4, 0, s8
	v_mul_f32_e32 v2, 0x4f7ffffe, v2
	v_cvt_u32_f32_e32 v2, v2
	s_nop 0
	v_readfirstlane_b32 s5, v2
	s_mul_i32 s4, s4, s5
	s_mul_hi_u32 s4, s5, s4
	s_add_i32 s5, s5, s4
	s_mul_hi_u32 s4, s20, s5
	s_mul_i32 s11, s4, s8
	s_sub_i32 s11, s20, s11
	s_add_i32 s5, s4, 1
	s_sub_i32 s15, s11, s8
	s_cmp_ge_u32 s11, s8
	s_cselect_b32 s4, s5, s4
	s_cselect_b32 s11, s15, s11
	s_add_i32 s5, s4, 1
	s_cmp_ge_u32 s11, s8
	s_cselect_b32 s4, s5, s4
.LBB0_2:
	s_load_dwordx2 s[20:21], s[0:1], 0x58
	v_mov_b64_e32 v[2:3], s[8:9]
	v_cmp_lt_u64_e32 vcc, s[2:3], v[2:3]
	s_cbranch_vccnz .LBB0_4
; %bb.3:
	v_rcp_iflag_f32_e32 v1, v1
	s_sub_i32 s3, 0, s8
	v_mul_f32_e32 v1, 0x4f7ffffe, v1
	v_cvt_u32_f32_e32 v1, v1
	s_nop 0
	v_readfirstlane_b32 s5, v1
	s_mul_i32 s3, s3, s5
	s_mul_hi_u32 s3, s5, s3
	s_add_i32 s5, s5, s3
	s_mul_hi_u32 s3, s2, s5
	s_mul_i32 s3, s3, s8
	s_sub_i32 s2, s2, s3
	s_sub_i32 s3, s2, s8
	s_cmp_ge_u32 s2, s8
	s_cselect_b32 s2, s3, s2
	s_sub_i32 s3, s2, s8
	s_cmp_ge_u32 s2, s8
	s_cselect_b32 s2, s3, s2
.LBB0_4:
	s_load_dwordx2 s[8:9], s[0:1], 0x8
	s_mul_i32 s46, s4, 11
	s_mul_i32 s3, s2, s14
	s_mul_i32 s4, s46, s16
	s_add_i32 s3, s3, s4
	s_waitcnt lgkmcnt(0)
	s_lshl_b64 s[14:15], s[8:9], 3
	s_add_u32 s22, s6, s14
	s_addc_u32 s23, s7, s15
	s_load_dwordx2 s[24:25], s[22:23], 0x0
	s_load_dwordx4 s[4:7], s[18:19], 0x0
	s_load_dwordx2 s[8:9], s[18:19], 0x10
	v_mul_u32_u24_e32 v1, 0x21e, v0
	v_lshrrev_b32_e32 v6, 16, v1
	s_waitcnt lgkmcnt(0)
	s_mul_i32 s7, s25, s33
	s_mul_hi_u32 s9, s24, s33
	s_mul_i32 s11, s24, s33
	s_add_i32 s9, s9, s7
	s_add_u32 s22, s11, s3
	s_addc_u32 s23, s9, 0
	s_add_u32 s14, s18, s14
	s_addc_u32 s15, s19, s15
	s_load_dwordx2 s[14:15], s[14:15], 0x0
	s_add_i32 s3, s46, 11
	s_cmp_le_u32 s3, s10
	s_cselect_b64 s[44:45], -1, 0
	v_mul_lo_u16_e32 v1, 0x79, v6
	v_sub_u16_e32 v1, v0, v1
	s_mov_b64 s[18:19], -1
	s_and_b64 vcc, exec, s[44:45]
	s_cbranch_vccnz .LBB0_9
; %bb.5:
	v_add_u32_e32 v7, s46, v6
	v_cmp_gt_u32_e32 vcc, s10, v7
	s_and_saveexec_b64 s[18:19], vcc
	s_cbranch_execz .LBB0_8
; %bb.6:
	v_mad_u64_u32 v[2:3], s[24:25], s12, v1, 0
	v_mov_b32_e32 v4, v3
	v_mad_u64_u32 v[4:5], s[24:25], s13, v1, v[4:5]
	s_lshl_b64 s[24:25], s[22:23], 4
	s_add_u32 s24, s20, s24
	v_mov_b32_e32 v3, v4
	s_addc_u32 s25, s21, s25
	v_mul_u32_u24_e32 v4, 0xb0, v1
	v_lshlrev_b32_e32 v5, 4, v6
	v_lshl_add_u64 v[2:3], v[2:3], 4, s[24:25]
	s_mov_b32 s3, 0
	v_add3_u32 v8, v4, v5, 0
	v_mul_lo_u32 v4, v6, s16
	s_mov_b64 s[24:25], 0
	v_mov_b32_e32 v5, 0
.LBB0_7:                                ; =>This Inner Loop Header: Depth=1
	v_lshl_add_u64 v[10:11], v[4:5], 4, v[2:3]
	global_load_dwordx4 v[10:13], v[10:11], off
	s_add_i32 s3, s3, 1
	v_add_u32_e32 v9, s3, v7
	v_cmp_le_u32_e32 vcc, s10, v9
	v_add_u32_e32 v4, s16, v4
	s_or_b64 s[24:25], vcc, s[24:25]
	s_waitcnt vmcnt(0)
	ds_write_b128 v8, v[10:13]
	v_add_u32_e32 v8, 16, v8
	s_andn2_b64 exec, exec, s[24:25]
	s_cbranch_execnz .LBB0_7
.LBB0_8:
	s_or_b64 exec, exec, s[18:19]
	s_mov_b64 s[18:19], 0
.LBB0_9:
	s_andn2_b64 vcc, exec, s[18:19]
	s_cbranch_vccnz .LBB0_11
; %bb.10:
	v_mad_u64_u32 v[2:3], s[18:19], s12, v1, 0
	v_mov_b32_e32 v4, v3
	v_mad_u64_u32 v[4:5], s[12:13], s13, v1, v[4:5]
	s_lshl_b64 s[12:13], s[22:23], 4
	s_add_u32 s12, s20, s12
	v_mov_b32_e32 v3, v4
	s_addc_u32 s13, s21, s13
	v_mul_lo_u32 v44, s16, v6
	v_mov_b32_e32 v45, 0
	v_lshl_add_u64 v[46:47], v[2:3], 4, s[12:13]
	v_lshl_add_u64 v[12:13], v[44:45], 4, v[46:47]
	v_add_u32_e32 v44, s16, v44
	v_lshl_add_u64 v[14:15], v[44:45], 4, v[46:47]
	v_add_u32_e32 v44, s16, v44
	;; [unrolled: 2-line block ×9, first 2 shown]
	global_load_dwordx4 v[2:5], v[12:13], off
	global_load_dwordx4 v[8:11], v[14:15], off
	s_nop 0
	global_load_dwordx4 v[12:15], v[20:21], off
	global_load_dwordx4 v[16:19], v[22:23], off
	s_nop 0
	;; [unrolled: 3-line block ×3, first 2 shown]
	global_load_dwordx4 v[28:31], v[36:37], off
	global_load_dwordx4 v[32:35], v[38:39], off
	v_lshl_add_u64 v[50:51], v[44:45], 4, v[46:47]
	global_load_dwordx4 v[36:39], v[48:49], off
	global_load_dwordx4 v[40:43], v[50:51], off
	v_add_u32_e32 v44, s16, v44
	v_lshl_add_u64 v[44:45], v[44:45], 4, v[46:47]
	global_load_dwordx4 v[44:47], v[44:45], off
	v_mul_u32_u24_e32 v7, 0xb0, v1
	v_lshlrev_b32_e32 v6, 4, v6
	v_add3_u32 v6, 0, v7, v6
	s_waitcnt vmcnt(10)
	ds_write_b128 v6, v[2:5]
	s_waitcnt vmcnt(9)
	ds_write_b128 v6, v[8:11] offset:16
	s_waitcnt vmcnt(8)
	ds_write_b128 v6, v[12:15] offset:32
	;; [unrolled: 2-line block ×10, first 2 shown]
.LBB0_11:
	s_movk_i32 s3, 0x1746
	v_mul_u32_u24_sdwa v2, v0, s3 dst_sel:DWORD dst_unused:UNUSED_PAD src0_sel:WORD_0 src1_sel:DWORD
	v_mov_b32_e32 v3, 11
	v_mul_lo_u16_sdwa v2, v2, v3 dst_sel:DWORD dst_unused:UNUSED_PAD src0_sel:WORD_1 src1_sel:DWORD
	s_mov_b32 s7, 0x1745d175
	v_sub_u16_e32 v68, v0, v2
	v_mul_hi_u32 v57, v0, s7
	v_mul_u32_u24_e32 v2, 0xb0, v57
	v_lshlrev_b32_e32 v3, 4, v68
	v_add3_u32 v56, 0, v2, v3
	s_waitcnt lgkmcnt(0)
	s_barrier
	ds_read_b128 v[6:9], v56
	ds_read_b128 v[30:33], v56 offset:1936
	ds_read_b128 v[34:37], v56 offset:3872
	;; [unrolled: 1-line block ×10, first 2 shown]
	s_waitcnt lgkmcnt(9)
	v_add_f64 v[2:3], v[6:7], v[30:31]
	v_add_f64 v[4:5], v[8:9], v[32:33]
	s_waitcnt lgkmcnt(8)
	v_add_f64 v[2:3], v[2:3], v[34:35]
	v_add_f64 v[4:5], v[4:5], v[36:37]
	;; [unrolled: 3-line block ×8, first 2 shown]
	s_mov_b32 s16, 0xf8bb580b
	s_mov_b32 s26, 0x8eee2c13
	s_mov_b32 s28, 0x43842ef
	s_mov_b32 s30, 0xbb3a28a1
	s_mov_b32 s34, 0xfd768dbf
	s_waitcnt lgkmcnt(1)
	v_add_f64 v[2:3], v[2:3], v[38:39]
	v_add_f64 v[4:5], v[4:5], v[40:41]
	s_waitcnt lgkmcnt(0)
	v_add_f64 v[54:55], v[32:33], -v[50:51]
	s_mov_b32 s17, 0xbfe14ced
	s_mov_b32 s12, 0x8764f0ba
	;; [unrolled: 1-line block ×10, first 2 shown]
	v_add_f64 v[2:3], v[2:3], v[48:49]
	v_add_f64 v[4:5], v[4:5], v[50:51]
	;; [unrolled: 1-line block ×4, first 2 shown]
	v_add_f64 v[48:49], v[30:31], -v[48:49]
	v_mul_f64 v[50:51], v[54:55], s[16:17]
	s_mov_b32 s13, 0x3feaeb8c
	v_add_f64 v[32:33], v[34:35], v[38:39]
	v_add_f64 v[34:35], v[34:35], -v[38:39]
	v_add_f64 v[38:39], v[28:29], v[44:45]
	v_add_f64 v[28:29], v[28:29], -v[44:45]
	;; [unrolled: 2-line block ×4, first 2 shown]
	v_mul_f64 v[16:17], v[54:55], s[26:27]
	s_mov_b32 s19, 0x3fda9628
	s_mov_b32 s21, 0xbfc2375f
	v_mul_f64 v[60:61], v[54:55], s[28:29]
	s_mov_b32 s23, 0xbfe4f49e
	v_mul_f64 v[64:65], v[54:55], s[30:31]
	v_mul_f64 v[54:55], v[54:55], s[34:35]
	s_mov_b32 s25, 0xbfeeb42a
	v_add_f64 v[30:31], v[36:37], v[40:41]
	v_add_f64 v[36:37], v[36:37], -v[40:41]
	v_add_f64 v[40:41], v[26:27], v[42:43]
	v_add_f64 v[26:27], v[26:27], -v[42:43]
	;; [unrolled: 2-line block ×4, first 2 shown]
	v_fma_f64 v[14:15], v[52:53], s[12:13], -v[50:51]
	v_fmac_f64_e32 v[50:51], s[12:13], v[52:53]
	v_fma_f64 v[58:59], v[52:53], s[18:19], -v[16:17]
	v_fmac_f64_e32 v[16:17], s[18:19], v[52:53]
	;; [unrolled: 2-line block ×5, first 2 shown]
	v_mul_f64 v[52:53], v[48:49], s[16:17]
	v_mul_f64 v[74:75], v[48:49], s[26:27]
	v_fma_f64 v[72:73], s[12:13], v[46:47], v[52:53]
	v_fma_f64 v[76:77], s[18:19], v[46:47], v[74:75]
	v_mul_f64 v[78:79], v[48:49], s[28:29]
	v_mul_f64 v[82:83], v[48:49], s[30:31]
	;; [unrolled: 1-line block ×3, first 2 shown]
	v_fma_f64 v[52:53], v[46:47], s[12:13], -v[52:53]
	v_fma_f64 v[74:75], v[46:47], s[18:19], -v[74:75]
	v_fma_f64 v[80:81], s[20:21], v[46:47], v[78:79]
	v_fma_f64 v[78:79], v[46:47], s[20:21], -v[78:79]
	v_fma_f64 v[84:85], s[22:23], v[46:47], v[82:83]
	;; [unrolled: 2-line block ×3, first 2 shown]
	v_fma_f64 v[46:47], v[46:47], s[24:25], -v[48:49]
	v_add_f64 v[14:15], v[6:7], v[14:15]
	v_add_f64 v[48:49], v[8:9], v[72:73]
	;; [unrolled: 1-line block ×12, first 2 shown]
	v_mul_f64 v[6:7], v[36:37], s[26:27]
	v_add_f64 v[52:53], v[8:9], v[52:53]
	v_add_f64 v[74:75], v[8:9], v[74:75]
	;; [unrolled: 1-line block ×8, first 2 shown]
	v_fma_f64 v[8:9], v[32:33], s[18:19], -v[6:7]
	v_mul_f64 v[46:47], v[34:35], s[26:27]
	v_add_f64 v[8:9], v[8:9], v[14:15]
	v_fma_f64 v[14:15], s[18:19], v[30:31], v[46:47]
	v_add_f64 v[14:15], v[14:15], v[48:49]
	v_mul_f64 v[48:49], v[28:29], s[28:29]
	v_fma_f64 v[16:17], v[40:41], s[20:21], -v[48:49]
	v_mul_f64 v[60:61], v[26:27], s[28:29]
	v_add_f64 v[8:9], v[16:17], v[8:9]
	v_fma_f64 v[16:17], s[20:21], v[38:39], v[60:61]
	v_mul_f64 v[64:65], v[20:21], s[30:31]
	v_add_f64 v[14:15], v[16:17], v[14:15]
	v_fma_f64 v[16:17], v[44:45], s[22:23], -v[64:65]
	v_mul_f64 v[70:71], v[18:19], s[30:31]
	v_fmac_f64_e32 v[6:7], s[18:19], v[32:33]
	v_add_f64 v[8:9], v[16:17], v[8:9]
	v_fma_f64 v[16:17], s[22:23], v[42:43], v[70:71]
	v_mul_f64 v[96:97], v[12:13], s[34:35]
	v_add_f64 v[6:7], v[6:7], v[50:51]
	v_fma_f64 v[46:47], v[30:31], s[18:19], -v[46:47]
	v_fmac_f64_e32 v[48:49], s[20:21], v[40:41]
	v_add_f64 v[16:17], v[16:17], v[14:15]
	v_fma_f64 v[14:15], v[24:25], s[24:25], -v[96:97]
	v_add_f64 v[46:47], v[46:47], v[52:53]
	v_add_f64 v[6:7], v[48:49], v[6:7]
	v_fma_f64 v[48:49], v[38:39], s[20:21], -v[60:61]
	v_add_f64 v[14:15], v[14:15], v[8:9]
	v_mul_f64 v[8:9], v[10:11], s[34:35]
	v_add_f64 v[46:47], v[48:49], v[46:47]
	v_fma_f64 v[48:49], v[42:43], s[22:23], -v[70:71]
	v_fma_f64 v[98:99], s[24:25], v[22:23], v[8:9]
	v_add_f64 v[46:47], v[48:49], v[46:47]
	v_fma_f64 v[8:9], v[22:23], s[24:25], -v[8:9]
	v_mul_f64 v[50:51], v[36:37], s[30:31]
	v_add_f64 v[8:9], v[8:9], v[46:47]
	v_fma_f64 v[46:47], v[32:33], s[22:23], -v[50:51]
	s_mov_b32 s37, 0x3fd207e7
	s_mov_b32 s36, s34
	v_add_f64 v[46:47], v[46:47], v[58:59]
	v_mul_f64 v[58:59], v[28:29], s[36:37]
	v_mul_f64 v[52:53], v[34:35], s[30:31]
	v_fma_f64 v[60:61], v[40:41], s[24:25], -v[58:59]
	v_fmac_f64_e32 v[64:65], s[22:23], v[44:45]
	v_fma_f64 v[48:49], s[22:23], v[30:31], v[52:53]
	v_add_f64 v[46:47], v[60:61], v[46:47]
	v_mul_f64 v[60:61], v[26:27], s[36:37]
	v_add_f64 v[6:7], v[64:65], v[6:7]
	v_add_f64 v[48:49], v[48:49], v[72:73]
	v_fma_f64 v[64:65], s[24:25], v[38:39], v[60:61]
	s_mov_b32 s39, 0x3fefac9e
	s_mov_b32 s38, s28
	v_add_f64 v[48:49], v[64:65], v[48:49]
	v_mul_f64 v[64:65], v[20:21], s[38:39]
	v_fma_f64 v[70:71], v[44:45], s[20:21], -v[64:65]
	v_add_f64 v[46:47], v[70:71], v[46:47]
	v_mul_f64 v[70:71], v[18:19], s[38:39]
	v_fma_f64 v[72:73], s[20:21], v[42:43], v[70:71]
	s_mov_b32 s41, 0x3fe14ced
	s_mov_b32 s40, s16
	v_fmac_f64_e32 v[50:51], s[22:23], v[32:33]
	v_fmac_f64_e32 v[96:97], s[24:25], v[24:25]
	v_add_f64 v[48:49], v[72:73], v[48:49]
	v_mul_f64 v[72:73], v[12:13], s[40:41]
	v_add_f64 v[50:51], v[50:51], v[76:77]
	v_fma_f64 v[52:53], v[30:31], s[22:23], -v[52:53]
	v_fmac_f64_e32 v[58:59], s[24:25], v[40:41]
	v_add_f64 v[6:7], v[96:97], v[6:7]
	v_fma_f64 v[96:97], v[24:25], s[12:13], -v[72:73]
	v_add_f64 v[52:53], v[52:53], v[74:75]
	v_add_f64 v[50:51], v[58:59], v[50:51]
	v_fma_f64 v[58:59], v[38:39], s[24:25], -v[60:61]
	v_add_f64 v[46:47], v[96:97], v[46:47]
	v_mul_f64 v[96:97], v[10:11], s[40:41]
	v_add_f64 v[52:53], v[58:59], v[52:53]
	v_fmac_f64_e32 v[64:65], s[20:21], v[44:45]
	v_fma_f64 v[58:59], v[42:43], s[20:21], -v[70:71]
	v_add_f64 v[50:51], v[64:65], v[50:51]
	v_add_f64 v[52:53], v[58:59], v[52:53]
	v_fma_f64 v[58:59], v[22:23], s[12:13], -v[96:97]
	v_mul_f64 v[64:65], v[36:37], s[36:37]
	s_mov_b32 s43, 0x3fed1bb4
	s_mov_b32 s42, s26
	v_fmac_f64_e32 v[72:73], s[12:13], v[24:25]
	v_add_f64 v[52:53], v[58:59], v[52:53]
	v_fma_f64 v[58:59], v[32:33], s[24:25], -v[64:65]
	v_mul_f64 v[70:71], v[28:29], s[42:43]
	v_add_f64 v[50:51], v[72:73], v[50:51]
	v_add_f64 v[58:59], v[58:59], v[62:63]
	v_mul_f64 v[62:63], v[34:35], s[36:37]
	v_fma_f64 v[72:73], v[40:41], s[18:19], -v[70:71]
	v_fma_f64 v[60:61], s[24:25], v[30:31], v[62:63]
	v_add_f64 v[58:59], v[72:73], v[58:59]
	v_mul_f64 v[72:73], v[26:27], s[42:43]
	v_add_f64 v[60:61], v[60:61], v[80:81]
	v_fma_f64 v[74:75], s[18:19], v[38:39], v[72:73]
	v_add_f64 v[60:61], v[74:75], v[60:61]
	v_mul_f64 v[74:75], v[20:21], s[16:17]
	v_fma_f64 v[76:77], v[44:45], s[12:13], -v[74:75]
	v_add_f64 v[58:59], v[76:77], v[58:59]
	v_mul_f64 v[76:77], v[18:19], s[16:17]
	v_fma_f64 v[80:81], s[12:13], v[42:43], v[76:77]
	v_fmac_f64_e32 v[64:65], s[24:25], v[32:33]
	v_add_f64 v[60:61], v[80:81], v[60:61]
	v_mul_f64 v[80:81], v[12:13], s[30:31]
	v_add_f64 v[64:65], v[64:65], v[88:89]
	v_fma_f64 v[62:63], v[30:31], s[24:25], -v[62:63]
	v_fmac_f64_e32 v[70:71], s[18:19], v[40:41]
	v_add_f64 v[16:17], v[98:99], v[16:17]
	v_fma_f64 v[98:99], s[12:13], v[22:23], v[96:97]
	v_fma_f64 v[96:97], v[24:25], s[22:23], -v[80:81]
	v_add_f64 v[62:63], v[62:63], v[78:79]
	v_add_f64 v[64:65], v[70:71], v[64:65]
	v_fma_f64 v[70:71], v[38:39], s[18:19], -v[72:73]
	v_fmac_f64_e32 v[74:75], s[12:13], v[44:45]
	v_add_f64 v[58:59], v[96:97], v[58:59]
	v_mul_f64 v[96:97], v[10:11], s[30:31]
	v_add_f64 v[62:63], v[70:71], v[62:63]
	v_add_f64 v[64:65], v[74:75], v[64:65]
	v_fma_f64 v[70:71], v[42:43], s[12:13], -v[76:77]
	v_fmac_f64_e32 v[80:81], s[22:23], v[24:25]
	v_add_f64 v[70:71], v[70:71], v[62:63]
	v_add_f64 v[62:63], v[80:81], v[64:65]
	v_fma_f64 v[64:65], v[22:23], s[22:23], -v[96:97]
	v_mul_f64 v[74:75], v[36:37], s[38:39]
	v_add_f64 v[64:65], v[64:65], v[70:71]
	v_fma_f64 v[70:71], v[32:33], s[20:21], -v[74:75]
	v_mul_f64 v[76:77], v[34:35], s[38:39]
	v_mul_f64 v[78:79], v[28:29], s[16:17]
	v_add_f64 v[66:67], v[70:71], v[66:67]
	v_fma_f64 v[70:71], s[20:21], v[30:31], v[76:77]
	v_fma_f64 v[72:73], v[40:41], s[12:13], -v[78:79]
	v_mul_f64 v[80:81], v[26:27], s[16:17]
	v_fma_f64 v[76:77], v[30:31], s[20:21], -v[76:77]
	v_mul_f64 v[36:37], v[36:37], s[40:41]
	v_add_f64 v[70:71], v[70:71], v[84:85]
	v_add_f64 v[66:67], v[72:73], v[66:67]
	v_fma_f64 v[72:73], s[12:13], v[38:39], v[80:81]
	v_mul_f64 v[84:85], v[20:21], s[34:35]
	v_fmac_f64_e32 v[74:75], s[20:21], v[32:33]
	v_add_f64 v[76:77], v[76:77], v[82:83]
	v_fma_f64 v[82:83], v[32:33], s[12:13], -v[36:37]
	v_mul_f64 v[34:35], v[34:35], s[40:41]
	v_fmac_f64_e32 v[36:37], s[12:13], v[32:33]
	v_mul_f64 v[28:29], v[28:29], s[30:31]
	v_add_f64 v[70:71], v[72:73], v[70:71]
	v_fma_f64 v[72:73], v[44:45], s[24:25], -v[84:85]
	v_mul_f64 v[88:89], v[18:19], s[34:35]
	v_add_f64 v[74:75], v[74:75], v[90:91]
	v_fma_f64 v[90:91], s[12:13], v[30:31], v[34:35]
	v_add_f64 v[32:33], v[36:37], v[54:55]
	v_fma_f64 v[30:31], v[30:31], s[12:13], -v[34:35]
	v_fmac_f64_e32 v[78:79], s[12:13], v[40:41]
	v_fma_f64 v[36:37], v[38:39], s[12:13], -v[80:81]
	v_fma_f64 v[54:55], v[40:41], s[22:23], -v[28:29]
	v_mul_f64 v[26:27], v[26:27], s[30:31]
	v_fmac_f64_e32 v[28:29], s[22:23], v[40:41]
	v_add_f64 v[48:49], v[98:99], v[48:49]
	v_fma_f64 v[98:99], s[22:23], v[22:23], v[96:97]
	v_add_f64 v[66:67], v[72:73], v[66:67]
	v_fma_f64 v[72:73], s[24:25], v[42:43], v[88:89]
	v_mul_f64 v[96:97], v[12:13], s[42:43]
	v_add_f64 v[30:31], v[30:31], v[94:95]
	v_add_f64 v[34:35], v[78:79], v[74:75]
	;; [unrolled: 1-line block ×3, first 2 shown]
	v_fma_f64 v[74:75], s[22:23], v[38:39], v[26:27]
	v_add_f64 v[28:29], v[28:29], v[32:33]
	v_fma_f64 v[26:27], v[38:39], s[22:23], -v[26:27]
	v_fmac_f64_e32 v[84:85], s[24:25], v[44:45]
	v_fma_f64 v[32:33], v[42:43], s[24:25], -v[88:89]
	v_mul_f64 v[18:19], v[18:19], s[42:43]
	v_add_f64 v[72:73], v[72:73], v[70:71]
	v_fma_f64 v[70:71], v[24:25], s[18:19], -v[96:97]
	v_add_f64 v[86:87], v[90:91], v[86:87]
	v_add_f64 v[26:27], v[26:27], v[30:31]
	;; [unrolled: 1-line block ×4, first 2 shown]
	v_mul_f64 v[20:21], v[20:21], s[42:43]
	v_fma_f64 v[36:37], s[18:19], v[42:43], v[18:19]
	v_fma_f64 v[18:19], v[42:43], s[18:19], -v[18:19]
	v_fmac_f64_e32 v[96:97], s[18:19], v[24:25]
	v_add_f64 v[82:83], v[82:83], v[92:93]
	v_add_f64 v[74:75], v[74:75], v[86:87]
	v_fma_f64 v[34:35], v[44:45], s[18:19], -v[20:21]
	v_fmac_f64_e32 v[20:21], s[18:19], v[44:45]
	v_add_f64 v[40:41], v[18:19], v[26:27]
	v_add_f64 v[18:19], v[96:97], v[30:31]
	v_mul_f64 v[12:13], v[12:13], s[28:29]
	v_mul_f64 v[30:31], v[10:11], s[28:29]
	v_add_f64 v[70:71], v[70:71], v[66:67]
	v_mul_f64 v[66:67], v[10:11], s[42:43]
	v_add_f64 v[54:55], v[54:55], v[82:83]
	v_add_f64 v[36:37], v[36:37], v[74:75]
	;; [unrolled: 1-line block ×3, first 2 shown]
	v_fma_f64 v[26:27], v[24:25], s[20:21], -v[12:13]
	v_fma_f64 v[10:11], s[20:21], v[22:23], v[30:31]
	v_fmac_f64_e32 v[12:13], s[20:21], v[24:25]
	s_movk_i32 s9, 0x6e0
	v_add_f64 v[60:61], v[98:99], v[60:61]
	v_fma_f64 v[98:99], s[18:19], v[22:23], v[66:67]
	v_add_f64 v[34:35], v[34:35], v[54:55]
	v_fma_f64 v[20:21], v[22:23], s[18:19], -v[66:67]
	v_add_f64 v[28:29], v[10:11], v[36:37]
	v_add_f64 v[10:11], v[12:13], v[38:39]
	v_fma_f64 v[12:13], v[22:23], s[20:21], -v[30:31]
	v_mad_u32_u24 v22, v57, s9, v56
	v_add_f64 v[72:73], v[98:99], v[72:73]
	v_add_f64 v[20:21], v[20:21], v[32:33]
	;; [unrolled: 1-line block ×4, first 2 shown]
	s_barrier
	ds_write_b128 v22, v[2:5]
	ds_write_b128 v22, v[14:17] offset:176
	ds_write_b128 v22, v[46:49] offset:352
	;; [unrolled: 1-line block ×10, first 2 shown]
	v_add_u32_e32 v2, s46, v68
	v_cmp_gt_u32_e32 vcc, s10, v2
	s_mov_b32 s3, 0
	s_or_b64 s[10:11], s[44:45], vcc
	s_waitcnt lgkmcnt(0)
	s_barrier
	s_and_saveexec_b64 s[44:45], s[10:11]
	s_cbranch_execz .LBB0_13
; %bb.12:
	v_mul_hi_u32 v2, v57, s7
	s_load_dwordx2 s[10:11], s[0:1], 0x0
	v_mul_u32_u24_e32 v2, 11, v2
	v_sub_u32_e32 v69, v57, v2
	v_mul_u32_u24_e32 v2, 10, v69
	v_lshlrev_b32_e32 v2, 4, v2
	s_waitcnt lgkmcnt(0)
	global_load_dwordx4 v[10:13], v2, s[10:11] offset:64
	global_load_dwordx4 v[14:17], v2, s[10:11] offset:80
	;; [unrolled: 1-line block ×8, first 2 shown]
	global_load_dwordx4 v[74:77], v2, s[10:11]
	global_load_dwordx4 v[78:81], v2, s[10:11] offset:144
	ds_read_b128 v[2:5], v56 offset:9680
	ds_read_b128 v[46:49], v56 offset:7744
	;; [unrolled: 1-line block ×8, first 2 shown]
	ds_read_b128 v[6:9], v56
	ds_read_b128 v[106:109], v56 offset:1936
	ds_read_b128 v[110:113], v56 offset:19360
	s_mov_b32 s11, 0x3fe82f19
	s_mov_b32 s10, s30
	s_load_dwordx2 s[0:1], s[0:1], 0x60
	s_mul_i32 s2, s2, s8
	s_mul_i32 s7, s5, s46
	s_mul_hi_u32 s8, s4, s46
	s_add_i32 s9, s8, s7
	s_mul_i32 s8, s4, s46
	s_mul_i32 s7, s15, s33
	v_sub_u32_e32 v0, v0, v1
	v_add_u32_e32 v0, v0, v69
	v_mul_lo_u32 v0, v0, s6
	v_mov_b32_e32 v1, 0
	s_waitcnt vmcnt(9) lgkmcnt(0)
	v_mul_f64 v[26:27], v[2:3], v[12:13]
	s_waitcnt vmcnt(8)
	v_mul_f64 v[28:29], v[82:83], v[16:17]
	s_waitcnt vmcnt(7)
	v_mul_f64 v[32:33], v[46:47], v[20:21]
	v_mul_f64 v[20:21], v[48:49], v[20:21]
	s_waitcnt vmcnt(5)
	v_mul_f64 v[42:43], v[90:91], v[54:55]
	s_waitcnt vmcnt(4)
	v_mul_f64 v[34:35], v[98:99], v[62:63]
	v_mul_f64 v[54:55], v[92:93], v[54:55]
	;; [unrolled: 1-line block ×3, first 2 shown]
	s_waitcnt vmcnt(1)
	v_mul_f64 v[58:59], v[106:107], v[76:77]
	s_waitcnt vmcnt(0)
	v_mul_f64 v[44:45], v[110:111], v[80:81]
	v_mul_f64 v[50:51], v[94:95], v[66:67]
	;; [unrolled: 1-line block ×6, first 2 shown]
	v_fmac_f64_e32 v[58:59], v[108:109], v[74:75]
	v_fmac_f64_e32 v[44:45], v[112:113], v[78:79]
	v_mul_f64 v[72:73], v[104:105], v[72:73]
	v_fmac_f64_e32 v[42:43], v[92:93], v[52:53]
	v_fmac_f64_e32 v[34:35], v[100:101], v[60:61]
	v_fma_f64 v[56:57], v[90:91], v[52:53], -v[54:55]
	v_fma_f64 v[52:53], v[98:99], v[60:61], -v[62:63]
	v_fmac_f64_e32 v[50:51], v[96:97], v[64:65]
	v_fmac_f64_e32 v[38:39], v[104:105], v[70:71]
	v_fma_f64 v[62:63], v[94:95], v[64:65], -v[66:67]
	v_fma_f64 v[64:65], v[106:107], v[74:75], -v[76:77]
	v_fma_f64 v[60:61], v[110:111], v[78:79], -v[80:81]
	v_add_f64 v[98:99], v[58:59], v[44:45]
	v_mul_f64 v[16:17], v[84:85], v[16:17]
	v_mul_f64 v[30:31], v[86:87], v[24:25]
	;; [unrolled: 1-line block ×3, first 2 shown]
	v_fmac_f64_e32 v[32:33], v[48:49], v[18:19]
	v_fma_f64 v[48:49], v[46:47], v[18:19], -v[20:21]
	v_fma_f64 v[54:55], v[102:103], v[70:71], -v[72:73]
	v_add_f64 v[94:95], v[50:51], v[38:39]
	v_add_f64 v[100:101], v[64:65], -v[60:61]
	v_mul_f64 v[18:19], v[98:99], s[24:25]
	v_fma_f64 v[40:41], v[82:83], v[14:15], -v[16:17]
	v_fmac_f64_e32 v[30:31], v[88:89], v[22:23]
	v_fma_f64 v[46:47], v[86:87], v[22:23], -v[24:25]
	v_add_f64 v[90:91], v[42:43], v[34:35]
	v_add_f64 v[96:97], v[62:63], -v[54:55]
	v_mul_f64 v[16:17], v[94:95], s[12:13]
	v_fma_f64 v[24:25], s[36:37], v[100:101], v[18:19]
	v_mul_f64 v[12:13], v[4:5], v[12:13]
	v_fmac_f64_e32 v[26:27], v[4:5], v[10:11]
	v_fmac_f64_e32 v[28:29], v[84:85], v[14:15]
	v_add_f64 v[84:85], v[32:33], v[30:31]
	v_add_f64 v[92:93], v[56:57], -v[52:53]
	v_mul_f64 v[14:15], v[90:91], s[22:23]
	v_fma_f64 v[22:23], s[16:17], v[96:97], v[16:17]
	v_add_f64 v[24:25], v[8:9], v[24:25]
	v_fma_f64 v[36:37], v[2:3], v[10:11], -v[12:13]
	v_add_f64 v[82:83], v[26:27], v[28:29]
	v_add_f64 v[88:89], v[48:49], -v[46:47]
	v_mul_f64 v[12:13], v[84:85], s[18:19]
	v_fma_f64 v[20:21], s[10:11], v[92:93], v[14:15]
	v_add_f64 v[22:23], v[22:23], v[24:25]
	v_add_f64 v[118:119], v[58:59], -v[44:45]
	v_add_f64 v[86:87], v[36:37], -v[40:41]
	v_mul_f64 v[10:11], v[82:83], s[20:21]
	v_fma_f64 v[4:5], s[26:27], v[88:89], v[12:13]
	v_add_f64 v[20:21], v[20:21], v[22:23]
	v_add_f64 v[114:115], v[50:51], -v[38:39]
	v_add_f64 v[116:117], v[64:65], v[60:61]
	v_mul_f64 v[72:73], v[118:119], s[34:35]
	v_fmac_f64_e32 v[18:19], s[34:35], v[100:101]
	v_fma_f64 v[2:3], s[38:39], v[86:87], v[10:11]
	v_add_f64 v[4:5], v[4:5], v[20:21]
	v_add_f64 v[110:111], v[42:43], -v[34:35]
	v_add_f64 v[112:113], v[62:63], v[54:55]
	v_mul_f64 v[70:71], v[114:115], s[40:41]
	v_fma_f64 v[74:75], s[24:25], v[116:117], v[72:73]
	v_fmac_f64_e32 v[16:17], s[40:41], v[96:97]
	v_add_f64 v[18:19], v[8:9], v[18:19]
	v_add_f64 v[4:5], v[2:3], v[4:5]
	v_add_f64 v[106:107], v[32:33], -v[30:31]
	v_add_f64 v[108:109], v[56:57], v[52:53]
	v_mul_f64 v[24:25], v[110:111], s[30:31]
	v_fma_f64 v[2:3], s[12:13], v[112:113], v[70:71]
	v_add_f64 v[74:75], v[6:7], v[74:75]
	v_fmac_f64_e32 v[14:15], s[30:31], v[92:93]
	v_add_f64 v[16:17], v[16:17], v[18:19]
	v_add_f64 v[102:103], v[26:27], -v[28:29]
	v_add_f64 v[104:105], v[48:49], v[46:47]
	v_mul_f64 v[22:23], v[106:107], s[42:43]
	v_add_f64 v[2:3], v[2:3], v[74:75]
	v_fma_f64 v[74:75], s[22:23], v[108:109], v[24:25]
	v_fmac_f64_e32 v[12:13], s[42:43], v[88:89]
	v_add_f64 v[14:15], v[14:15], v[16:17]
	v_add_f64 v[66:67], v[36:37], v[40:41]
	v_mul_f64 v[20:21], v[102:103], s[28:29]
	v_add_f64 v[2:3], v[74:75], v[2:3]
	v_fma_f64 v[74:75], s[18:19], v[104:105], v[22:23]
	v_fmac_f64_e32 v[10:11], s[28:29], v[86:87]
	v_add_f64 v[12:13], v[12:13], v[14:15]
	v_add_f64 v[2:3], v[74:75], v[2:3]
	v_fma_f64 v[74:75], s[20:21], v[66:67], v[20:21]
	v_add_f64 v[12:13], v[10:11], v[12:13]
	v_fma_f64 v[10:11], v[66:67], s[20:21], -v[20:21]
	v_fma_f64 v[20:21], v[116:117], s[24:25], -v[72:73]
	;; [unrolled: 1-line block ×3, first 2 shown]
	v_add_f64 v[20:21], v[6:7], v[20:21]
	v_mul_f64 v[70:71], v[98:99], s[22:23]
	v_fma_f64 v[14:15], v[104:105], s[18:19], -v[22:23]
	v_fma_f64 v[16:17], v[108:109], s[22:23], -v[24:25]
	v_add_f64 v[18:19], v[18:19], v[20:21]
	v_mul_f64 v[22:23], v[94:95], s[20:21]
	v_fma_f64 v[72:73], s[10:11], v[100:101], v[70:71]
	v_add_f64 v[16:17], v[16:17], v[18:19]
	v_mul_f64 v[20:21], v[90:91], s[12:13]
	v_fma_f64 v[24:25], s[28:29], v[96:97], v[22:23]
	v_add_f64 v[72:73], v[8:9], v[72:73]
	v_add_f64 v[2:3], v[74:75], v[2:3]
	;; [unrolled: 1-line block ×3, first 2 shown]
	v_mul_f64 v[18:19], v[84:85], s[24:25]
	v_fma_f64 v[16:17], s[40:41], v[92:93], v[20:21]
	v_add_f64 v[24:25], v[24:25], v[72:73]
	v_mul_f64 v[74:75], v[118:119], s[30:31]
	v_add_f64 v[10:11], v[10:11], v[14:15]
	v_fma_f64 v[14:15], s[36:37], v[88:89], v[18:19]
	v_add_f64 v[16:17], v[16:17], v[24:25]
	v_mul_f64 v[72:73], v[114:115], s[38:39]
	v_fma_f64 v[76:77], s[22:23], v[116:117], v[74:75]
	v_fmac_f64_e32 v[70:71], s[30:31], v[100:101]
	v_add_f64 v[14:15], v[14:15], v[16:17]
	v_mul_f64 v[24:25], v[110:111], s[16:17]
	v_fma_f64 v[16:17], s[20:21], v[112:113], v[72:73]
	v_add_f64 v[76:77], v[6:7], v[76:77]
	v_fmac_f64_e32 v[22:23], s[38:39], v[96:97]
	v_add_f64 v[70:71], v[8:9], v[70:71]
	v_add_f64 v[16:17], v[16:17], v[76:77]
	v_fma_f64 v[76:77], s[12:13], v[108:109], v[24:25]
	v_add_f64 v[22:23], v[22:23], v[70:71]
	v_fma_f64 v[70:71], v[112:113], s[20:21], -v[72:73]
	v_fma_f64 v[72:73], v[116:117], s[22:23], -v[74:75]
	v_add_f64 v[16:17], v[76:77], v[16:17]
	v_mul_f64 v[76:77], v[106:107], s[34:35]
	v_fmac_f64_e32 v[20:21], s[16:17], v[92:93]
	v_add_f64 v[72:73], v[6:7], v[72:73]
	v_fma_f64 v[78:79], s[24:25], v[104:105], v[76:77]
	v_mul_f64 v[80:81], v[82:83], s[18:19]
	v_add_f64 v[20:21], v[20:21], v[22:23]
	v_fmac_f64_e32 v[18:19], s[34:35], v[88:89]
	v_fma_f64 v[24:25], v[108:109], s[12:13], -v[24:25]
	v_add_f64 v[70:71], v[70:71], v[72:73]
	v_add_f64 v[78:79], v[78:79], v[16:17]
	v_fma_f64 v[16:17], s[26:27], v[86:87], v[80:81]
	v_mul_f64 v[120:121], v[102:103], s[42:43]
	v_fmac_f64_e32 v[80:81], s[42:43], v[86:87]
	v_add_f64 v[18:19], v[18:19], v[20:21]
	v_fma_f64 v[22:23], v[104:105], s[24:25], -v[76:77]
	v_add_f64 v[24:25], v[24:25], v[70:71]
	v_mul_f64 v[76:77], v[98:99], s[20:21]
	v_add_f64 v[20:21], v[80:81], v[18:19]
	v_fma_f64 v[18:19], v[66:67], s[18:19], -v[120:121]
	v_add_f64 v[22:23], v[22:23], v[24:25]
	v_mul_f64 v[74:75], v[94:95], s[24:25]
	v_fma_f64 v[24:25], s[38:39], v[100:101], v[76:77]
	v_add_f64 v[18:19], v[18:19], v[22:23]
	v_mul_f64 v[72:73], v[90:91], s[18:19]
	v_fma_f64 v[22:23], s[34:35], v[96:97], v[74:75]
	v_add_f64 v[24:25], v[8:9], v[24:25]
	v_add_f64 v[16:17], v[16:17], v[14:15]
	v_fma_f64 v[14:15], s[18:19], v[66:67], v[120:121]
	v_mul_f64 v[70:71], v[84:85], s[12:13]
	v_add_f64 v[22:23], v[22:23], v[24:25]
	v_fma_f64 v[24:25], s[26:27], v[92:93], v[72:73]
	v_add_f64 v[14:15], v[14:15], v[78:79]
	v_add_f64 v[22:23], v[24:25], v[22:23]
	v_fma_f64 v[24:25], s[40:41], v[88:89], v[70:71]
	v_mul_f64 v[78:79], v[118:119], s[28:29]
	v_add_f64 v[22:23], v[24:25], v[22:23]
	v_fma_f64 v[24:25], s[20:21], v[116:117], v[78:79]
	v_mul_f64 v[80:81], v[114:115], s[36:37]
	v_fmac_f64_e32 v[76:77], s[28:29], v[100:101]
	v_add_f64 v[24:25], v[6:7], v[24:25]
	v_fma_f64 v[120:121], s[24:25], v[112:113], v[80:81]
	v_fmac_f64_e32 v[74:75], s[36:37], v[96:97]
	v_add_f64 v[76:77], v[8:9], v[76:77]
	v_add_f64 v[24:25], v[120:121], v[24:25]
	v_mul_f64 v[120:121], v[110:111], s[42:43]
	v_add_f64 v[74:75], v[74:75], v[76:77]
	v_fmac_f64_e32 v[72:73], s[42:43], v[92:93]
	v_fma_f64 v[122:123], s[18:19], v[108:109], v[120:121]
	v_add_f64 v[72:73], v[72:73], v[74:75]
	v_fmac_f64_e32 v[70:71], s[16:17], v[88:89]
	v_fma_f64 v[74:75], v[116:117], s[20:21], -v[78:79]
	v_add_f64 v[24:25], v[122:123], v[24:25]
	v_mul_f64 v[122:123], v[106:107], s[16:17]
	v_add_f64 v[70:71], v[70:71], v[72:73]
	v_fma_f64 v[72:73], v[112:113], s[24:25], -v[80:81]
	v_add_f64 v[74:75], v[6:7], v[74:75]
	v_fma_f64 v[124:125], s[12:13], v[104:105], v[122:123]
	v_mul_f64 v[126:127], v[82:83], s[22:23]
	v_add_f64 v[72:73], v[72:73], v[74:75]
	v_fma_f64 v[74:75], v[108:109], s[18:19], -v[120:121]
	v_add_f64 v[124:125], v[124:125], v[24:25]
	v_fma_f64 v[24:25], s[10:11], v[86:87], v[126:127]
	v_mul_f64 v[128:129], v[102:103], s[30:31]
	v_add_f64 v[72:73], v[74:75], v[72:73]
	v_fma_f64 v[74:75], v[104:105], s[12:13], -v[122:123]
	v_fmac_f64_e32 v[126:127], s[30:31], v[86:87]
	v_add_f64 v[74:75], v[74:75], v[72:73]
	v_add_f64 v[72:73], v[126:127], v[70:71]
	v_fma_f64 v[70:71], v[66:67], s[22:23], -v[128:129]
	v_mul_f64 v[78:79], v[98:99], s[18:19]
	v_add_f64 v[70:71], v[70:71], v[74:75]
	v_fma_f64 v[74:75], s[42:43], v[100:101], v[78:79]
	v_mul_f64 v[80:81], v[94:95], s[22:23]
	v_add_f64 v[74:75], v[8:9], v[74:75]
	v_fma_f64 v[76:77], s[10:11], v[96:97], v[80:81]
	;; [unrolled: 3-line block ×3, first 2 shown]
	v_add_f64 v[74:75], v[76:77], v[74:75]
	v_fma_f64 v[76:77], s[34:35], v[92:93], v[120:121]
	v_mul_f64 v[122:123], v[84:85], s[20:21]
	v_add_f64 v[22:23], v[22:23], v[124:125]
	v_add_f64 v[74:75], v[76:77], v[74:75]
	v_fma_f64 v[76:77], s[28:29], v[88:89], v[122:123]
	v_mul_f64 v[124:125], v[118:119], s[26:27]
	v_add_f64 v[74:75], v[76:77], v[74:75]
	v_fma_f64 v[76:77], s[18:19], v[116:117], v[124:125]
	v_mul_f64 v[126:127], v[114:115], s[30:31]
	v_fmac_f64_e32 v[78:79], s[26:27], v[100:101]
	v_add_f64 v[76:77], v[6:7], v[76:77]
	v_fma_f64 v[128:129], s[22:23], v[112:113], v[126:127]
	v_fmac_f64_e32 v[80:81], s[30:31], v[96:97]
	v_add_f64 v[78:79], v[8:9], v[78:79]
	v_add_f64 v[76:77], v[128:129], v[76:77]
	v_mul_f64 v[128:129], v[110:111], s[36:37]
	v_add_f64 v[78:79], v[80:81], v[78:79]
	v_fmac_f64_e32 v[120:121], s[36:37], v[92:93]
	v_fma_f64 v[130:131], s[24:25], v[108:109], v[128:129]
	v_add_f64 v[78:79], v[120:121], v[78:79]
	v_fma_f64 v[120:121], v[116:117], s[18:19], -v[124:125]
	v_add_f64 v[76:77], v[130:131], v[76:77]
	v_mul_f64 v[130:131], v[106:107], s[38:39]
	v_fma_f64 v[80:81], v[112:113], s[22:23], -v[126:127]
	v_add_f64 v[120:121], v[6:7], v[120:121]
	v_fma_f64 v[132:133], s[20:21], v[104:105], v[130:131]
	v_mul_f64 v[134:135], v[82:83], s[12:13]
	v_fmac_f64_e32 v[122:123], s[38:39], v[88:89]
	v_add_f64 v[80:81], v[80:81], v[120:121]
	v_fma_f64 v[120:121], v[108:109], s[24:25], -v[128:129]
	v_add_f64 v[132:133], v[132:133], v[76:77]
	v_fma_f64 v[76:77], s[16:17], v[86:87], v[134:135]
	v_mul_f64 v[136:137], v[102:103], s[40:41]
	v_add_f64 v[78:79], v[122:123], v[78:79]
	v_add_f64 v[80:81], v[120:121], v[80:81]
	v_fma_f64 v[120:121], v[104:105], s[20:21], -v[130:131]
	v_fmac_f64_e32 v[134:135], s[40:41], v[86:87]
	v_add_f64 v[120:121], v[120:121], v[80:81]
	v_add_f64 v[80:81], v[134:135], v[78:79]
	v_fma_f64 v[78:79], v[66:67], s[12:13], -v[136:137]
	v_mul_f64 v[98:99], v[98:99], s[12:13]
	v_add_f64 v[78:79], v[78:79], v[120:121]
	v_mul_f64 v[94:95], v[94:95], s[18:19]
	v_fma_f64 v[120:121], s[40:41], v[100:101], v[98:99]
	v_add_f64 v[120:121], v[8:9], v[120:121]
	v_fma_f64 v[122:123], s[42:43], v[96:97], v[94:95]
	v_mul_f64 v[90:91], v[90:91], s[20:21]
	v_add_f64 v[120:121], v[122:123], v[120:121]
	v_fma_f64 v[122:123], s[38:39], v[92:93], v[90:91]
	v_add_f64 v[120:121], v[122:123], v[120:121]
	v_mul_f64 v[122:123], v[84:85], s[22:23]
	v_fma_f64 v[84:85], s[10:11], v[88:89], v[122:123]
	v_mul_f64 v[118:119], v[118:119], s[16:17]
	v_add_f64 v[84:85], v[84:85], v[120:121]
	v_mul_f64 v[114:115], v[114:115], s[26:27]
	v_fma_f64 v[120:121], s[12:13], v[116:117], v[118:119]
	v_add_f64 v[120:121], v[6:7], v[120:121]
	v_fma_f64 v[124:125], s[18:19], v[112:113], v[114:115]
	v_mul_f64 v[110:111], v[110:111], s[28:29]
	v_add_f64 v[120:121], v[124:125], v[120:121]
	v_fma_f64 v[124:125], s[20:21], v[108:109], v[110:111]
	v_mul_f64 v[106:107], v[106:107], s[30:31]
	v_add_f64 v[120:121], v[124:125], v[120:121]
	v_fma_f64 v[124:125], s[22:23], v[104:105], v[106:107]
	v_add_f64 v[120:121], v[124:125], v[120:121]
	v_mul_f64 v[124:125], v[82:83], s[24:25]
	v_fmac_f64_e32 v[98:99], s[16:17], v[100:101]
	v_fma_f64 v[82:83], s[36:37], v[86:87], v[124:125]
	v_fmac_f64_e32 v[124:125], s[34:35], v[86:87]
	v_add_f64 v[86:87], v[8:9], v[98:99]
	v_add_f64 v[8:9], v[8:9], v[58:59]
	;; [unrolled: 1-line block ×4, first 2 shown]
	v_fmac_f64_e32 v[94:95], s[26:27], v[96:97]
	v_add_f64 v[8:9], v[8:9], v[32:33]
	v_add_f64 v[76:77], v[76:77], v[74:75]
	v_fma_f64 v[74:75], s[12:13], v[66:67], v[136:137]
	v_add_f64 v[86:87], v[94:95], v[86:87]
	v_fma_f64 v[94:95], v[116:117], s[12:13], -v[118:119]
	v_add_f64 v[8:9], v[8:9], v[26:27]
	v_mad_u64_u32 v[26:27], s[12:13], s4, v68, 0
	v_add_f64 v[8:9], v[8:9], v[28:29]
	v_mov_b32_e32 v28, v27
	s_mul_hi_u32 s10, s14, s33
	v_add_f64 v[94:95], v[6:7], v[94:95]
	v_add_f64 v[6:7], v[6:7], v[64:65]
	v_mad_u64_u32 v[28:29], s[4:5], s5, v68, v[28:29]
	s_add_i32 s11, s10, s7
	v_add_f64 v[6:7], v[6:7], v[62:63]
	s_lshl_b64 s[4:5], s[8:9], 4
	v_add_f64 v[6:7], v[6:7], v[56:57]
	s_add_u32 s4, s0, s4
	v_add_f64 v[6:7], v[6:7], v[48:49]
	s_addc_u32 s5, s1, s5
	s_lshl_b64 s[0:1], s[2:3], 4
	s_mul_i32 s10, s14, s33
	v_add_f64 v[6:7], v[6:7], v[36:37]
	s_add_u32 s2, s4, s0
	v_fmac_f64_e32 v[90:91], s[28:29], v[92:93]
	v_add_f64 v[6:7], v[6:7], v[40:41]
	s_addc_u32 s3, s5, s1
	s_lshl_b64 s[0:1], s[10:11], 4
	v_fmac_f64_e32 v[122:123], s[30:31], v[88:89]
	v_add_f64 v[86:87], v[90:91], v[86:87]
	v_fma_f64 v[92:93], v[112:113], s[18:19], -v[114:115]
	v_add_f64 v[8:9], v[8:9], v[30:31]
	v_add_f64 v[6:7], v[6:7], v[46:47]
	s_add_u32 s0, s2, s0
	v_add_f64 v[86:87], v[122:123], v[86:87]
	v_fma_f64 v[90:91], v[108:109], s[20:21], -v[110:111]
	v_add_f64 v[92:93], v[92:93], v[94:95]
	v_add_f64 v[8:9], v[8:9], v[34:35]
	;; [unrolled: 1-line block ×3, first 2 shown]
	v_mov_b32_e32 v27, v28
	s_addc_u32 s1, s3, s1
	v_mul_f64 v[102:103], v[102:103], s[34:35]
	v_add_f64 v[88:89], v[124:125], v[86:87]
	v_fma_f64 v[86:87], v[104:105], s[22:23], -v[106:107]
	v_add_f64 v[90:91], v[90:91], v[92:93]
	v_add_f64 v[8:9], v[8:9], v[38:39]
	;; [unrolled: 1-line block ×3, first 2 shown]
	v_lshl_add_u64 v[26:27], v[26:27], 4, s[0:1]
	s_mul_i32 s0, s6, 11
	v_add_f64 v[84:85], v[82:83], v[84:85]
	v_fma_f64 v[82:83], s[24:25], v[66:67], v[102:103]
	v_fma_f64 v[66:67], v[66:67], s[24:25], -v[102:103]
	v_add_f64 v[86:87], v[86:87], v[90:91]
	v_add_f64 v[8:9], v[8:9], v[44:45]
	;; [unrolled: 1-line block ×3, first 2 shown]
	v_lshl_add_u64 v[28:29], v[0:1], 4, v[26:27]
	v_add_u32_e32 v0, s0, v0
	v_add_f64 v[86:87], v[66:67], v[86:87]
	global_store_dwordx4 v[28:29], v[6:9], off
	v_add_f64 v[74:75], v[74:75], v[132:133]
	v_add_f64 v[82:83], v[82:83], v[120:121]
	v_lshl_add_u64 v[6:7], v[0:1], 4, v[26:27]
	v_add_u32_e32 v0, s0, v0
	global_store_dwordx4 v[6:7], v[86:89], off
	v_lshl_add_u64 v[6:7], v[0:1], 4, v[26:27]
	v_add_u32_e32 v0, s0, v0
	global_store_dwordx4 v[6:7], v[78:81], off
	;; [unrolled: 3-line block ×6, first 2 shown]
	s_nop 1
	v_lshl_add_u64 v[2:3], v[0:1], 4, v[26:27]
	v_add_u32_e32 v0, s0, v0
	global_store_dwordx4 v[2:3], v[14:17], off
	v_lshl_add_u64 v[2:3], v[0:1], 4, v[26:27]
	v_add_u32_e32 v0, s0, v0
	global_store_dwordx4 v[2:3], v[22:25], off
	v_lshl_add_u64 v[2:3], v[0:1], 4, v[26:27]
	v_add_u32_e32 v0, s0, v0
	v_lshl_add_u64 v[0:1], v[0:1], 4, v[26:27]
	global_store_dwordx4 v[2:3], v[74:77], off
	global_store_dwordx4 v[0:1], v[82:85], off
.LBB0_13:
	s_endpgm
	.section	.rodata,"a",@progbits
	.p2align	6, 0x0
	.amdhsa_kernel fft_rtc_fwd_len121_factors_11_11_wgs_121_tpt_11_dp_op_CI_CI_sbrc_xy_z_unaligned_dirReg
		.amdhsa_group_segment_fixed_size 0
		.amdhsa_private_segment_fixed_size 0
		.amdhsa_kernarg_size 104
		.amdhsa_user_sgpr_count 2
		.amdhsa_user_sgpr_dispatch_ptr 0
		.amdhsa_user_sgpr_queue_ptr 0
		.amdhsa_user_sgpr_kernarg_segment_ptr 1
		.amdhsa_user_sgpr_dispatch_id 0
		.amdhsa_user_sgpr_kernarg_preload_length 0
		.amdhsa_user_sgpr_kernarg_preload_offset 0
		.amdhsa_user_sgpr_private_segment_size 0
		.amdhsa_uses_dynamic_stack 0
		.amdhsa_enable_private_segment 0
		.amdhsa_system_sgpr_workgroup_id_x 1
		.amdhsa_system_sgpr_workgroup_id_y 0
		.amdhsa_system_sgpr_workgroup_id_z 0
		.amdhsa_system_sgpr_workgroup_info 0
		.amdhsa_system_vgpr_workitem_id 0
		.amdhsa_next_free_vgpr 138
		.amdhsa_next_free_sgpr 47
		.amdhsa_accum_offset 140
		.amdhsa_reserve_vcc 1
		.amdhsa_float_round_mode_32 0
		.amdhsa_float_round_mode_16_64 0
		.amdhsa_float_denorm_mode_32 3
		.amdhsa_float_denorm_mode_16_64 3
		.amdhsa_dx10_clamp 1
		.amdhsa_ieee_mode 1
		.amdhsa_fp16_overflow 0
		.amdhsa_tg_split 0
		.amdhsa_exception_fp_ieee_invalid_op 0
		.amdhsa_exception_fp_denorm_src 0
		.amdhsa_exception_fp_ieee_div_zero 0
		.amdhsa_exception_fp_ieee_overflow 0
		.amdhsa_exception_fp_ieee_underflow 0
		.amdhsa_exception_fp_ieee_inexact 0
		.amdhsa_exception_int_div_zero 0
	.end_amdhsa_kernel
	.text
.Lfunc_end0:
	.size	fft_rtc_fwd_len121_factors_11_11_wgs_121_tpt_11_dp_op_CI_CI_sbrc_xy_z_unaligned_dirReg, .Lfunc_end0-fft_rtc_fwd_len121_factors_11_11_wgs_121_tpt_11_dp_op_CI_CI_sbrc_xy_z_unaligned_dirReg
                                        ; -- End function
	.section	.AMDGPU.csdata,"",@progbits
; Kernel info:
; codeLenInByte = 7012
; NumSgprs: 53
; NumVgprs: 138
; NumAgprs: 0
; TotalNumVgprs: 138
; ScratchSize: 0
; MemoryBound: 0
; FloatMode: 240
; IeeeMode: 1
; LDSByteSize: 0 bytes/workgroup (compile time only)
; SGPRBlocks: 6
; VGPRBlocks: 17
; NumSGPRsForWavesPerEU: 53
; NumVGPRsForWavesPerEU: 138
; AccumOffset: 140
; Occupancy: 3
; WaveLimiterHint : 1
; COMPUTE_PGM_RSRC2:SCRATCH_EN: 0
; COMPUTE_PGM_RSRC2:USER_SGPR: 2
; COMPUTE_PGM_RSRC2:TRAP_HANDLER: 0
; COMPUTE_PGM_RSRC2:TGID_X_EN: 1
; COMPUTE_PGM_RSRC2:TGID_Y_EN: 0
; COMPUTE_PGM_RSRC2:TGID_Z_EN: 0
; COMPUTE_PGM_RSRC2:TIDIG_COMP_CNT: 0
; COMPUTE_PGM_RSRC3_GFX90A:ACCUM_OFFSET: 34
; COMPUTE_PGM_RSRC3_GFX90A:TG_SPLIT: 0
	.text
	.p2alignl 6, 3212836864
	.fill 256, 4, 3212836864
	.type	__hip_cuid_b9df9f47acc603b1,@object ; @__hip_cuid_b9df9f47acc603b1
	.section	.bss,"aw",@nobits
	.globl	__hip_cuid_b9df9f47acc603b1
__hip_cuid_b9df9f47acc603b1:
	.byte	0                               ; 0x0
	.size	__hip_cuid_b9df9f47acc603b1, 1

	.ident	"AMD clang version 19.0.0git (https://github.com/RadeonOpenCompute/llvm-project roc-6.4.0 25133 c7fe45cf4b819c5991fe208aaa96edf142730f1d)"
	.section	".note.GNU-stack","",@progbits
	.addrsig
	.addrsig_sym __hip_cuid_b9df9f47acc603b1
	.amdgpu_metadata
---
amdhsa.kernels:
  - .agpr_count:     0
    .args:
      - .actual_access:  read_only
        .address_space:  global
        .offset:         0
        .size:           8
        .value_kind:     global_buffer
      - .offset:         8
        .size:           8
        .value_kind:     by_value
      - .actual_access:  read_only
        .address_space:  global
        .offset:         16
        .size:           8
        .value_kind:     global_buffer
      - .actual_access:  read_only
        .address_space:  global
        .offset:         24
        .size:           8
        .value_kind:     global_buffer
      - .actual_access:  read_only
        .address_space:  global
        .offset:         32
        .size:           8
        .value_kind:     global_buffer
      - .offset:         40
        .size:           8
        .value_kind:     by_value
      - .actual_access:  read_only
        .address_space:  global
        .offset:         48
        .size:           8
        .value_kind:     global_buffer
      - .actual_access:  read_only
        .address_space:  global
        .offset:         56
        .size:           8
        .value_kind:     global_buffer
      - .offset:         64
        .size:           4
        .value_kind:     by_value
      - .actual_access:  read_only
        .address_space:  global
        .offset:         72
        .size:           8
        .value_kind:     global_buffer
      - .actual_access:  read_only
        .address_space:  global
        .offset:         80
        .size:           8
        .value_kind:     global_buffer
      - .actual_access:  read_only
        .address_space:  global
        .offset:         88
        .size:           8
        .value_kind:     global_buffer
      - .actual_access:  write_only
        .address_space:  global
        .offset:         96
        .size:           8
        .value_kind:     global_buffer
    .group_segment_fixed_size: 0
    .kernarg_segment_align: 8
    .kernarg_segment_size: 104
    .language:       OpenCL C
    .language_version:
      - 2
      - 0
    .max_flat_workgroup_size: 121
    .name:           fft_rtc_fwd_len121_factors_11_11_wgs_121_tpt_11_dp_op_CI_CI_sbrc_xy_z_unaligned_dirReg
    .private_segment_fixed_size: 0
    .sgpr_count:     53
    .sgpr_spill_count: 0
    .symbol:         fft_rtc_fwd_len121_factors_11_11_wgs_121_tpt_11_dp_op_CI_CI_sbrc_xy_z_unaligned_dirReg.kd
    .uniform_work_group_size: 1
    .uses_dynamic_stack: false
    .vgpr_count:     138
    .vgpr_spill_count: 0
    .wavefront_size: 64
amdhsa.target:   amdgcn-amd-amdhsa--gfx950
amdhsa.version:
  - 1
  - 2
...

	.end_amdgpu_metadata
